;; amdgpu-corpus repo=llvm/llvm-project kind=harvested arch=n/a opt=n/a
// NOTE: Assertions have been autogenerated by utils/update_mc_test_checks.py UTC_ARGS: --unique --sort --version 6
// RUN: llvm-mc -triple=amdgcn -mcpu=gfx900 -show-encoding %s | FileCheck %s

v_interp_mov_f32 v255, p10, attr0.x
// CHECK: v_interp_mov_f32_e32 v255, p10, attr0.x ; encoding: [0x00,0x00,0xfe,0xd7]

v_interp_mov_f32 v5, p0, attr0.x
// CHECK: v_interp_mov_f32_e32 v5, p0, attr0.x    ; encoding: [0x02,0x00,0x16,0xd4]

v_interp_mov_f32 v5, p10, attr0.w
// CHECK: v_interp_mov_f32_e32 v5, p10, attr0.w   ; encoding: [0x00,0x03,0x16,0xd4]

v_interp_mov_f32 v5, p10, attr0.x
// CHECK: v_interp_mov_f32_e32 v5, p10, attr0.x   ; encoding: [0x00,0x00,0x16,0xd4]

v_interp_mov_f32 v5, p10, attr0.y
// CHECK: v_interp_mov_f32_e32 v5, p10, attr0.y   ; encoding: [0x00,0x01,0x16,0xd4]

v_interp_mov_f32 v5, p10, attr0.z
// CHECK: v_interp_mov_f32_e32 v5, p10, attr0.z   ; encoding: [0x00,0x02,0x16,0xd4]

v_interp_mov_f32 v5, p10, attr1.x
// CHECK: v_interp_mov_f32_e32 v5, p10, attr1.x   ; encoding: [0x00,0x04,0x16,0xd4]

v_interp_mov_f32 v5, p10, attr31.x
// CHECK: v_interp_mov_f32_e32 v5, p10, attr31.x  ; encoding: [0x00,0x7c,0x16,0xd4]

v_interp_mov_f32 v5, p10, attr32.x
// CHECK: v_interp_mov_f32_e32 v5, p10, attr32.x  ; encoding: [0x00,0x80,0x16,0xd4]

v_interp_mov_f32 v5, p20, attr0.x
// CHECK: v_interp_mov_f32_e32 v5, p20, attr0.x   ; encoding: [0x01,0x00,0x16,0xd4]

v_interp_p1_f32 v255, v1, attr0.x
// CHECK: v_interp_p1_f32_e32 v255, v1, attr0.x   ; encoding: [0x01,0x00,0xfc,0xd7]

v_interp_p1_f32 v5, v1, attr0.w
// CHECK: v_interp_p1_f32_e32 v5, v1, attr0.w     ; encoding: [0x01,0x03,0x14,0xd4]

v_interp_p1_f32 v5, v1, attr0.x
// CHECK: v_interp_p1_f32_e32 v5, v1, attr0.x     ; encoding: [0x01,0x00,0x14,0xd4]

v_interp_p1_f32 v5, v1, attr0.y
// CHECK: v_interp_p1_f32_e32 v5, v1, attr0.y     ; encoding: [0x01,0x01,0x14,0xd4]

v_interp_p1_f32 v5, v1, attr0.z
// CHECK: v_interp_p1_f32_e32 v5, v1, attr0.z     ; encoding: [0x01,0x02,0x14,0xd4]

v_interp_p1_f32 v5, v1, attr1.x
// CHECK: v_interp_p1_f32_e32 v5, v1, attr1.x     ; encoding: [0x01,0x04,0x14,0xd4]

v_interp_p1_f32 v5, v1, attr31.x
// CHECK: v_interp_p1_f32_e32 v5, v1, attr31.x    ; encoding: [0x01,0x7c,0x14,0xd4]

v_interp_p1_f32 v5, v1, attr32.x
// CHECK: v_interp_p1_f32_e32 v5, v1, attr32.x    ; encoding: [0x01,0x80,0x14,0xd4]

v_interp_p1_f32 v5, v255, attr0.x
// CHECK: v_interp_p1_f32_e32 v5, v255, attr0.x   ; encoding: [0xff,0x00,0x14,0xd4]

v_interp_p2_f32 v255, v1, attr0.x
// CHECK: v_interp_p2_f32_e32 v255, v1, attr0.x   ; encoding: [0x01,0x00,0xfd,0xd7]

v_interp_p2_f32 v5, v1, attr0.w
// CHECK: v_interp_p2_f32_e32 v5, v1, attr0.w     ; encoding: [0x01,0x03,0x15,0xd4]

v_interp_p2_f32 v5, v1, attr0.x
// CHECK: v_interp_p2_f32_e32 v5, v1, attr0.x     ; encoding: [0x01,0x00,0x15,0xd4]

v_interp_p2_f32 v5, v1, attr0.y
// CHECK: v_interp_p2_f32_e32 v5, v1, attr0.y     ; encoding: [0x01,0x01,0x15,0xd4]

v_interp_p2_f32 v5, v1, attr0.z
// CHECK: v_interp_p2_f32_e32 v5, v1, attr0.z     ; encoding: [0x01,0x02,0x15,0xd4]

v_interp_p2_f32 v5, v1, attr1.x
// CHECK: v_interp_p2_f32_e32 v5, v1, attr1.x     ; encoding: [0x01,0x04,0x15,0xd4]

v_interp_p2_f32 v5, v1, attr31.x
// CHECK: v_interp_p2_f32_e32 v5, v1, attr31.x    ; encoding: [0x01,0x7c,0x15,0xd4]

v_interp_p2_f32 v5, v1, attr32.x
// CHECK: v_interp_p2_f32_e32 v5, v1, attr32.x    ; encoding: [0x01,0x80,0x15,0xd4]

v_interp_p2_f32 v5, v255, attr0.x
// CHECK: v_interp_p2_f32_e32 v5, v255, attr0.x   ; encoding: [0xff,0x00,0x15,0xd4]
